;; amdgpu-corpus repo=ROCm/rocFFT kind=compiled arch=gfx906 opt=O3
	.text
	.amdgcn_target "amdgcn-amd-amdhsa--gfx906"
	.amdhsa_code_object_version 6
	.protected	fft_rtc_fwd_len1280_factors_16_5_16_wgs_80_tpt_80_halfLds_half_ip_CI_unitstride_sbrr_C2R_dirReg ; -- Begin function fft_rtc_fwd_len1280_factors_16_5_16_wgs_80_tpt_80_halfLds_half_ip_CI_unitstride_sbrr_C2R_dirReg
	.globl	fft_rtc_fwd_len1280_factors_16_5_16_wgs_80_tpt_80_halfLds_half_ip_CI_unitstride_sbrr_C2R_dirReg
	.p2align	8
	.type	fft_rtc_fwd_len1280_factors_16_5_16_wgs_80_tpt_80_halfLds_half_ip_CI_unitstride_sbrr_C2R_dirReg,@function
fft_rtc_fwd_len1280_factors_16_5_16_wgs_80_tpt_80_halfLds_half_ip_CI_unitstride_sbrr_C2R_dirReg: ; @fft_rtc_fwd_len1280_factors_16_5_16_wgs_80_tpt_80_halfLds_half_ip_CI_unitstride_sbrr_C2R_dirReg
; %bb.0:
	s_load_dwordx2 s[2:3], s[4:5], 0x50
	s_load_dwordx4 s[8:11], s[4:5], 0x0
	s_load_dwordx2 s[12:13], s[4:5], 0x18
	v_mul_u32_u24_e32 v1, 0x334, v0
	v_add_u32_sdwa v5, s6, v1 dst_sel:DWORD dst_unused:UNUSED_PAD src0_sel:DWORD src1_sel:WORD_1
	v_mov_b32_e32 v3, 0
	s_waitcnt lgkmcnt(0)
	v_cmp_lt_u64_e64 s[0:1], s[10:11], 2
	v_mov_b32_e32 v1, 0
	v_mov_b32_e32 v6, v3
	s_and_b64 vcc, exec, s[0:1]
	v_mov_b32_e32 v2, 0
	s_cbranch_vccnz .LBB0_8
; %bb.1:
	s_load_dwordx2 s[0:1], s[4:5], 0x10
	s_add_u32 s6, s12, 8
	s_addc_u32 s7, s13, 0
	v_mov_b32_e32 v1, 0
	v_mov_b32_e32 v2, 0
	s_waitcnt lgkmcnt(0)
	s_add_u32 s14, s0, 8
	s_addc_u32 s15, s1, 0
	s_mov_b64 s[16:17], 1
.LBB0_2:                                ; =>This Inner Loop Header: Depth=1
	s_load_dwordx2 s[18:19], s[14:15], 0x0
                                        ; implicit-def: $vgpr7_vgpr8
	s_waitcnt lgkmcnt(0)
	v_or_b32_e32 v4, s19, v6
	v_cmp_ne_u64_e32 vcc, 0, v[3:4]
	s_and_saveexec_b64 s[0:1], vcc
	s_xor_b64 s[20:21], exec, s[0:1]
	s_cbranch_execz .LBB0_4
; %bb.3:                                ;   in Loop: Header=BB0_2 Depth=1
	v_cvt_f32_u32_e32 v4, s18
	v_cvt_f32_u32_e32 v7, s19
	s_sub_u32 s0, 0, s18
	s_subb_u32 s1, 0, s19
	v_mac_f32_e32 v4, 0x4f800000, v7
	v_rcp_f32_e32 v4, v4
	v_mul_f32_e32 v4, 0x5f7ffffc, v4
	v_mul_f32_e32 v7, 0x2f800000, v4
	v_trunc_f32_e32 v7, v7
	v_mac_f32_e32 v4, 0xcf800000, v7
	v_cvt_u32_f32_e32 v7, v7
	v_cvt_u32_f32_e32 v4, v4
	v_mul_lo_u32 v8, s0, v7
	v_mul_hi_u32 v9, s0, v4
	v_mul_lo_u32 v11, s1, v4
	v_mul_lo_u32 v10, s0, v4
	v_add_u32_e32 v8, v9, v8
	v_add_u32_e32 v8, v8, v11
	v_mul_hi_u32 v9, v4, v10
	v_mul_lo_u32 v11, v4, v8
	v_mul_hi_u32 v13, v4, v8
	v_mul_hi_u32 v12, v7, v10
	v_mul_lo_u32 v10, v7, v10
	v_mul_hi_u32 v14, v7, v8
	v_add_co_u32_e32 v9, vcc, v9, v11
	v_addc_co_u32_e32 v11, vcc, 0, v13, vcc
	v_mul_lo_u32 v8, v7, v8
	v_add_co_u32_e32 v9, vcc, v9, v10
	v_addc_co_u32_e32 v9, vcc, v11, v12, vcc
	v_addc_co_u32_e32 v10, vcc, 0, v14, vcc
	v_add_co_u32_e32 v8, vcc, v9, v8
	v_addc_co_u32_e32 v9, vcc, 0, v10, vcc
	v_add_co_u32_e32 v4, vcc, v4, v8
	v_addc_co_u32_e32 v7, vcc, v7, v9, vcc
	v_mul_lo_u32 v8, s0, v7
	v_mul_hi_u32 v9, s0, v4
	v_mul_lo_u32 v10, s1, v4
	v_mul_lo_u32 v11, s0, v4
	v_add_u32_e32 v8, v9, v8
	v_add_u32_e32 v8, v8, v10
	v_mul_lo_u32 v12, v4, v8
	v_mul_hi_u32 v13, v4, v11
	v_mul_hi_u32 v14, v4, v8
	;; [unrolled: 1-line block ×3, first 2 shown]
	v_mul_lo_u32 v11, v7, v11
	v_mul_hi_u32 v9, v7, v8
	v_add_co_u32_e32 v12, vcc, v13, v12
	v_addc_co_u32_e32 v13, vcc, 0, v14, vcc
	v_mul_lo_u32 v8, v7, v8
	v_add_co_u32_e32 v11, vcc, v12, v11
	v_addc_co_u32_e32 v10, vcc, v13, v10, vcc
	v_addc_co_u32_e32 v9, vcc, 0, v9, vcc
	v_add_co_u32_e32 v8, vcc, v10, v8
	v_addc_co_u32_e32 v9, vcc, 0, v9, vcc
	v_add_co_u32_e32 v4, vcc, v4, v8
	v_addc_co_u32_e32 v9, vcc, v7, v9, vcc
	v_mad_u64_u32 v[7:8], s[0:1], v5, v9, 0
	v_mul_hi_u32 v10, v5, v4
	v_add_co_u32_e32 v11, vcc, v10, v7
	v_addc_co_u32_e32 v12, vcc, 0, v8, vcc
	v_mad_u64_u32 v[7:8], s[0:1], v6, v4, 0
	v_mad_u64_u32 v[9:10], s[0:1], v6, v9, 0
	v_add_co_u32_e32 v4, vcc, v11, v7
	v_addc_co_u32_e32 v4, vcc, v12, v8, vcc
	v_addc_co_u32_e32 v7, vcc, 0, v10, vcc
	v_add_co_u32_e32 v4, vcc, v4, v9
	v_addc_co_u32_e32 v9, vcc, 0, v7, vcc
	v_mul_lo_u32 v10, s19, v4
	v_mul_lo_u32 v11, s18, v9
	v_mad_u64_u32 v[7:8], s[0:1], s18, v4, 0
	v_add3_u32 v8, v8, v11, v10
	v_sub_u32_e32 v10, v6, v8
	v_mov_b32_e32 v11, s19
	v_sub_co_u32_e32 v7, vcc, v5, v7
	v_subb_co_u32_e64 v10, s[0:1], v10, v11, vcc
	v_subrev_co_u32_e64 v11, s[0:1], s18, v7
	v_subbrev_co_u32_e64 v10, s[0:1], 0, v10, s[0:1]
	v_cmp_le_u32_e64 s[0:1], s19, v10
	v_cndmask_b32_e64 v12, 0, -1, s[0:1]
	v_cmp_le_u32_e64 s[0:1], s18, v11
	v_cndmask_b32_e64 v11, 0, -1, s[0:1]
	v_cmp_eq_u32_e64 s[0:1], s19, v10
	v_cndmask_b32_e64 v10, v12, v11, s[0:1]
	v_add_co_u32_e64 v11, s[0:1], 2, v4
	v_addc_co_u32_e64 v12, s[0:1], 0, v9, s[0:1]
	v_add_co_u32_e64 v13, s[0:1], 1, v4
	v_addc_co_u32_e64 v14, s[0:1], 0, v9, s[0:1]
	v_subb_co_u32_e32 v8, vcc, v6, v8, vcc
	v_cmp_ne_u32_e64 s[0:1], 0, v10
	v_cmp_le_u32_e32 vcc, s19, v8
	v_cndmask_b32_e64 v10, v14, v12, s[0:1]
	v_cndmask_b32_e64 v12, 0, -1, vcc
	v_cmp_le_u32_e32 vcc, s18, v7
	v_cndmask_b32_e64 v7, 0, -1, vcc
	v_cmp_eq_u32_e32 vcc, s19, v8
	v_cndmask_b32_e32 v7, v12, v7, vcc
	v_cmp_ne_u32_e32 vcc, 0, v7
	v_cndmask_b32_e64 v7, v13, v11, s[0:1]
	v_cndmask_b32_e32 v8, v9, v10, vcc
	v_cndmask_b32_e32 v7, v4, v7, vcc
.LBB0_4:                                ;   in Loop: Header=BB0_2 Depth=1
	s_andn2_saveexec_b64 s[0:1], s[20:21]
	s_cbranch_execz .LBB0_6
; %bb.5:                                ;   in Loop: Header=BB0_2 Depth=1
	v_cvt_f32_u32_e32 v4, s18
	s_sub_i32 s20, 0, s18
	v_rcp_iflag_f32_e32 v4, v4
	v_mul_f32_e32 v4, 0x4f7ffffe, v4
	v_cvt_u32_f32_e32 v4, v4
	v_mul_lo_u32 v7, s20, v4
	v_mul_hi_u32 v7, v4, v7
	v_add_u32_e32 v4, v4, v7
	v_mul_hi_u32 v4, v5, v4
	v_mul_lo_u32 v7, v4, s18
	v_add_u32_e32 v8, 1, v4
	v_sub_u32_e32 v7, v5, v7
	v_subrev_u32_e32 v9, s18, v7
	v_cmp_le_u32_e32 vcc, s18, v7
	v_cndmask_b32_e32 v7, v7, v9, vcc
	v_cndmask_b32_e32 v4, v4, v8, vcc
	v_add_u32_e32 v8, 1, v4
	v_cmp_le_u32_e32 vcc, s18, v7
	v_cndmask_b32_e32 v7, v4, v8, vcc
	v_mov_b32_e32 v8, v3
.LBB0_6:                                ;   in Loop: Header=BB0_2 Depth=1
	s_or_b64 exec, exec, s[0:1]
	v_mul_lo_u32 v4, v8, s18
	v_mul_lo_u32 v11, v7, s19
	v_mad_u64_u32 v[9:10], s[0:1], v7, s18, 0
	s_load_dwordx2 s[0:1], s[6:7], 0x0
	s_add_u32 s16, s16, 1
	v_add3_u32 v4, v10, v11, v4
	v_sub_co_u32_e32 v5, vcc, v5, v9
	v_subb_co_u32_e32 v4, vcc, v6, v4, vcc
	s_waitcnt lgkmcnt(0)
	v_mul_lo_u32 v4, s0, v4
	v_mul_lo_u32 v6, s1, v5
	v_mad_u64_u32 v[1:2], s[0:1], s0, v5, v[1:2]
	s_addc_u32 s17, s17, 0
	s_add_u32 s6, s6, 8
	v_add3_u32 v2, v6, v2, v4
	v_mov_b32_e32 v4, s10
	v_mov_b32_e32 v5, s11
	s_addc_u32 s7, s7, 0
	v_cmp_ge_u64_e32 vcc, s[16:17], v[4:5]
	s_add_u32 s14, s14, 8
	s_addc_u32 s15, s15, 0
	s_cbranch_vccnz .LBB0_9
; %bb.7:                                ;   in Loop: Header=BB0_2 Depth=1
	v_mov_b32_e32 v5, v7
	v_mov_b32_e32 v6, v8
	s_branch .LBB0_2
.LBB0_8:
	v_mov_b32_e32 v8, v6
	v_mov_b32_e32 v7, v5
.LBB0_9:
	s_lshl_b64 s[0:1], s[10:11], 3
	s_add_u32 s0, s12, s0
	s_addc_u32 s1, s13, s1
	s_load_dwordx2 s[6:7], s[0:1], 0x0
	s_load_dwordx2 s[10:11], s[4:5], 0x20
	s_waitcnt lgkmcnt(0)
	v_mad_u64_u32 v[1:2], s[0:1], s6, v7, v[1:2]
	v_mul_lo_u32 v3, s6, v8
	v_mul_lo_u32 v4, s7, v7
	s_mov_b32 s0, 0x3333334
	v_mul_hi_u32 v5, v0, s0
	v_cmp_gt_u64_e64 s[0:1], s[10:11], v[7:8]
	v_add3_u32 v2, v4, v2, v3
	v_lshlrev_b64 v[2:3], 2, v[1:2]
	v_mul_u32_u24_e32 v4, 0x50, v5
	v_sub_u32_e32 v0, v0, v4
	s_and_saveexec_b64 s[4:5], s[0:1]
	s_cbranch_execz .LBB0_13
; %bb.10:
	v_mov_b32_e32 v1, 0
	v_mov_b32_e32 v4, s3
	v_add_co_u32_e32 v5, vcc, s2, v2
	v_lshlrev_b64 v[6:7], 2, v[0:1]
	v_addc_co_u32_e32 v4, vcc, v4, v3, vcc
	v_add_co_u32_e32 v6, vcc, v5, v6
	v_addc_co_u32_e32 v7, vcc, v4, v7, vcc
	v_add_co_u32_e32 v8, vcc, 0x1000, v6
	global_load_dword v10, v[6:7], off
	global_load_dword v11, v[6:7], off offset:320
	global_load_dword v12, v[6:7], off offset:640
	;; [unrolled: 1-line block ×7, first 2 shown]
	v_addc_co_u32_e32 v9, vcc, 0, v7, vcc
	global_load_dword v18, v[6:7], off offset:2560
	global_load_dword v19, v[6:7], off offset:2880
	;; [unrolled: 1-line block ×8, first 2 shown]
	s_movk_i32 s6, 0x4f
	v_lshl_add_u32 v6, v0, 2, 0
	v_cmp_eq_u32_e32 vcc, s6, v0
	v_add_u32_e32 v7, 0x400, v6
	v_add_u32_e32 v8, 0x600, v6
	v_add_u32_e32 v9, 0x800, v6
	v_add_u32_e32 v26, 0xc00, v6
	v_add_u32_e32 v27, 0xe00, v6
	v_add_u32_e32 v28, 0x1000, v6
	s_waitcnt vmcnt(14)
	ds_write2_b32 v6, v10, v11 offset1:80
	s_waitcnt vmcnt(12)
	ds_write2_b32 v6, v12, v13 offset0:160 offset1:240
	s_waitcnt vmcnt(10)
	ds_write2_b32 v7, v14, v15 offset0:64 offset1:144
	;; [unrolled: 2-line block ×7, first 2 shown]
	s_and_saveexec_b64 s[6:7], vcc
	s_cbranch_execz .LBB0_12
; %bb.11:
	v_add_co_u32_e32 v5, vcc, 0x1000, v5
	v_addc_co_u32_e32 v6, vcc, 0, v4, vcc
	global_load_dword v0, v[5:6], off offset:1024
	s_waitcnt vmcnt(0)
	ds_write_b32 v1, v0 offset:5120
	v_mov_b32_e32 v0, 0x4f
.LBB0_12:
	s_or_b64 exec, exec, s[6:7]
.LBB0_13:
	s_or_b64 exec, exec, s[4:5]
	v_lshlrev_b32_e32 v1, 2, v0
	v_add_u32_e32 v22, 0, v1
	s_waitcnt lgkmcnt(0)
	s_barrier
	v_sub_u32_e32 v6, 0, v1
	ds_read_u16 v9, v22
	ds_read_u16 v10, v6 offset:5120
	s_add_u32 s6, s8, 0x13c0
	s_addc_u32 s7, s9, 0
	v_cmp_ne_u32_e32 vcc, 0, v0
                                        ; implicit-def: $vgpr4_vgpr5
	s_waitcnt lgkmcnt(0)
	v_add_f16_e32 v7, v10, v9
	v_sub_f16_e32 v8, v9, v10
	s_and_saveexec_b64 s[4:5], vcc
	s_xor_b64 s[4:5], exec, s[4:5]
	s_cbranch_execz .LBB0_15
; %bb.14:
	v_mov_b32_e32 v1, 0
	v_lshlrev_b64 v[4:5], 2, v[0:1]
	v_mov_b32_e32 v7, s7
	v_add_co_u32_e32 v4, vcc, s6, v4
	v_addc_co_u32_e32 v5, vcc, v7, v5, vcc
	global_load_dword v4, v[4:5], off
	ds_read_u16 v5, v6 offset:5122
	ds_read_u16 v7, v22 offset:2
	v_add_f16_e32 v8, v10, v9
	v_sub_f16_e32 v9, v9, v10
	s_waitcnt lgkmcnt(0)
	v_add_f16_e32 v10, v5, v7
	v_sub_f16_e32 v5, v7, v5
	s_waitcnt vmcnt(0)
	v_lshrrev_b32_e32 v7, 16, v4
	v_fma_f16 v11, v9, v7, v8
	v_fma_f16 v12, v10, v7, v5
	v_fma_f16 v13, -v9, v7, v8
	v_fma_f16 v5, v10, v7, -v5
	v_fma_f16 v7, -v4, v10, v11
	v_fma_f16 v8, v9, v4, v12
	v_fma_f16 v10, v4, v10, v13
	;; [unrolled: 1-line block ×3, first 2 shown]
	v_pack_b32_f16 v4, v10, v4
	ds_write_b32 v6, v4 offset:5120
	v_mov_b32_e32 v5, v1
	v_mov_b32_e32 v4, v0
.LBB0_15:
	s_andn2_saveexec_b64 s[4:5], s[4:5]
	s_cbranch_execz .LBB0_17
; %bb.16:
	v_mov_b32_e32 v1, 0
	ds_read_b32 v4, v1 offset:2560
	s_mov_b32 s10, 0xc0004000
	s_waitcnt lgkmcnt(0)
	v_pk_mul_f16 v9, v4, s10
	v_mov_b32_e32 v4, 0
	v_mov_b32_e32 v5, 0
	ds_write_b32 v1, v9 offset:2560
.LBB0_17:
	s_or_b64 exec, exec, s[4:5]
	v_lshlrev_b64 v[4:5], 2, v[4:5]
	v_mov_b32_e32 v1, s7
	v_add_co_u32_e32 v4, vcc, s6, v4
	v_addc_co_u32_e32 v5, vcc, v1, v5, vcc
	global_load_dword v1, v[4:5], off offset:320
	global_load_dword v9, v[4:5], off offset:640
	;; [unrolled: 1-line block ×4, first 2 shown]
	s_mov_b32 s4, 0x5040100
	v_perm_b32 v7, v8, v7, s4
	ds_write_b32 v22, v7
	ds_read_b32 v7, v22 offset:320
	ds_read_b32 v8, v6 offset:4800
	global_load_dword v12, v[4:5], off offset:1600
	global_load_dword v13, v[4:5], off offset:1920
	;; [unrolled: 1-line block ×3, first 2 shown]
	v_add_u32_e32 v24, 0x400, v22
	v_add_u32_e32 v20, 0x800, v22
	;; [unrolled: 1-line block ×3, first 2 shown]
	s_waitcnt lgkmcnt(0)
	v_add_f16_e32 v4, v7, v8
	v_add_f16_sdwa v5, v8, v7 dst_sel:DWORD dst_unused:UNUSED_PAD src0_sel:WORD_1 src1_sel:WORD_1
	v_sub_f16_e32 v15, v7, v8
	v_sub_f16_sdwa v7, v7, v8 dst_sel:DWORD dst_unused:UNUSED_PAD src0_sel:WORD_1 src1_sel:WORD_1
	v_add_u32_e32 v26, 0x1000, v22
	s_mov_b32 s4, 0xb9a8
	s_movk_i32 s5, 0x39a8
	s_mov_b32 s6, 0xbb64
	s_mov_b32 s7, 0xb61f
	s_movk_i32 s10, 0x361f
	s_movk_i32 s11, 0x3b64
	v_cmp_gt_u32_e32 vcc, 16, v0
	s_waitcnt vmcnt(6)
	v_lshrrev_b32_e32 v8, 16, v1
	v_fma_f16 v16, v15, v8, v4
	v_fma_f16 v17, v5, v8, v7
	v_fma_f16 v4, -v15, v8, v4
	v_fma_f16 v7, v5, v8, -v7
	v_fma_f16 v8, -v1, v5, v16
	v_fma_f16 v16, v15, v1, v17
	v_fma_f16 v4, v1, v5, v4
	v_fma_f16 v1, v15, v1, v7
	v_pack_b32_f16 v5, v8, v16
	v_pack_b32_f16 v1, v4, v1
	ds_write_b32 v22, v5 offset:320
	ds_write_b32 v6, v1 offset:4800
	ds_read_b32 v1, v22 offset:640
	ds_read_b32 v4, v6 offset:4480
	s_waitcnt vmcnt(5)
	v_lshrrev_b32_e32 v5, 16, v9
	s_waitcnt lgkmcnt(0)
	v_add_f16_e32 v7, v1, v4
	v_add_f16_sdwa v8, v4, v1 dst_sel:DWORD dst_unused:UNUSED_PAD src0_sel:WORD_1 src1_sel:WORD_1
	v_sub_f16_e32 v15, v1, v4
	v_sub_f16_sdwa v1, v1, v4 dst_sel:DWORD dst_unused:UNUSED_PAD src0_sel:WORD_1 src1_sel:WORD_1
	v_fma_f16 v4, v15, v5, v7
	v_fma_f16 v16, v8, v5, v1
	v_fma_f16 v7, -v15, v5, v7
	v_fma_f16 v1, v8, v5, -v1
	v_fma_f16 v4, -v9, v8, v4
	v_fma_f16 v5, v15, v9, v16
	v_fma_f16 v7, v9, v8, v7
	v_fma_f16 v1, v15, v9, v1
	v_pack_b32_f16 v4, v4, v5
	v_pack_b32_f16 v1, v7, v1
	ds_write_b32 v22, v4 offset:640
	ds_write_b32 v6, v1 offset:4480
	ds_read_b32 v1, v22 offset:960
	ds_read_b32 v4, v6 offset:4160
	s_waitcnt vmcnt(4)
	v_lshrrev_b32_e32 v5, 16, v10
	s_waitcnt lgkmcnt(0)
	v_add_f16_e32 v7, v1, v4
	v_add_f16_sdwa v8, v4, v1 dst_sel:DWORD dst_unused:UNUSED_PAD src0_sel:WORD_1 src1_sel:WORD_1
	v_sub_f16_e32 v9, v1, v4
	v_sub_f16_sdwa v1, v1, v4 dst_sel:DWORD dst_unused:UNUSED_PAD src0_sel:WORD_1 src1_sel:WORD_1
	;; [unrolled: 21-line block ×6, first 2 shown]
	v_fma_f16 v4, v9, v5, v7
	v_fma_f16 v10, v8, v5, v1
	v_fma_f16 v7, -v9, v5, v7
	v_fma_f16 v1, v8, v5, -v1
	v_fma_f16 v4, -v14, v8, v4
	v_fma_f16 v5, v9, v14, v10
	v_fma_f16 v7, v14, v8, v7
	;; [unrolled: 1-line block ×3, first 2 shown]
	v_pack_b32_f16 v4, v4, v5
	v_pack_b32_f16 v1, v7, v1
	ds_write_b32 v22, v4 offset:2240
	ds_write_b32 v6, v1 offset:2880
	v_add_u32_e32 v1, 0x600, v22
	s_waitcnt lgkmcnt(0)
	s_barrier
	s_barrier
	ds_read2_b32 v[4:5], v22 offset1:80
	ds_read2_b32 v[6:7], v22 offset0:160 offset1:240
	ds_read2_b32 v[10:11], v1 offset0:96 offset1:176
	v_add_u32_e32 v1, 0xe00, v22
	ds_read2_b32 v[8:9], v24 offset0:64 offset1:144
	ds_read2_b32 v[12:13], v20 offset0:128 offset1:208
	;; [unrolled: 1-line block ×5, first 2 shown]
	s_waitcnt lgkmcnt(0)
	v_pk_add_f16 v1, v4, v12 neg_lo:[0,1] neg_hi:[0,1]
	v_pk_add_f16 v14, v6, v14 neg_lo:[0,1] neg_hi:[0,1]
	;; [unrolled: 1-line block ×5, first 2 shown]
	v_sub_f16_sdwa v19, v1, v12 dst_sel:DWORD dst_unused:UNUSED_PAD src0_sel:DWORD src1_sel:WORD_1
	v_lshrrev_b32_e32 v21, 16, v1
	v_sub_f16_sdwa v23, v14, v16 dst_sel:DWORD dst_unused:UNUSED_PAD src0_sel:DWORD src1_sel:WORD_1
	v_lshrrev_b32_e32 v27, 16, v14
	v_pk_fma_f16 v4, v4, 2.0, v1 op_sel_hi:[1,0,1] neg_lo:[0,0,1] neg_hi:[0,0,1]
	v_pk_fma_f16 v8, v8, 2.0, v12 op_sel_hi:[1,0,1] neg_lo:[0,0,1] neg_hi:[0,0,1]
	;; [unrolled: 1-line block ×4, first 2 shown]
	v_add_f16_e32 v12, v21, v12
	v_fma_f16 v1, v1, 2.0, -v19
	v_add_f16_e32 v16, v27, v16
	v_fma_f16 v14, v14, 2.0, -v23
	v_fma_f16 v21, v21, 2.0, -v12
	v_fma_f16 v27, v27, 2.0, -v16
	v_fma_f16 v28, v14, s4, v1
	v_pk_add_f16 v13, v5, v13 neg_lo:[0,1] neg_hi:[0,1]
	v_pk_add_f16 v17, v9, v17 neg_lo:[0,1] neg_hi:[0,1]
	;; [unrolled: 1-line block ×3, first 2 shown]
	v_fma_f16 v28, v27, s4, v28
	v_fma_f16 v27, v27, s4, v21
	;; [unrolled: 1-line block ×3, first 2 shown]
	v_sub_f16_sdwa v27, v13, v17 dst_sel:DWORD dst_unused:UNUSED_PAD src0_sel:DWORD src1_sel:WORD_1
	v_lshrrev_b32_e32 v29, 16, v13
	v_sub_f16_sdwa v30, v15, v18 dst_sel:DWORD dst_unused:UNUSED_PAD src0_sel:DWORD src1_sel:WORD_1
	v_lshrrev_b32_e32 v31, 16, v15
	v_pk_fma_f16 v5, v5, 2.0, v13 op_sel_hi:[1,0,1] neg_lo:[0,0,1] neg_hi:[0,0,1]
	v_pk_fma_f16 v9, v9, 2.0, v17 op_sel_hi:[1,0,1] neg_lo:[0,0,1] neg_hi:[0,0,1]
	;; [unrolled: 1-line block ×4, first 2 shown]
	v_add_f16_e32 v17, v29, v17
	v_fma_f16 v13, v13, 2.0, -v27
	v_add_f16_e32 v18, v31, v18
	v_fma_f16 v15, v15, 2.0, -v30
	v_fma_f16 v29, v29, 2.0, -v17
	;; [unrolled: 1-line block ×3, first 2 shown]
	v_fma_f16 v32, v15, s4, v13
	v_fma_f16 v32, v31, s4, v32
	;; [unrolled: 1-line block ×4, first 2 shown]
	v_fma_f16 v1, v1, 2.0, -v28
	v_fma_f16 v13, v13, 2.0, -v32
	v_pk_add_f16 v8, v4, v8 neg_lo:[0,1] neg_hi:[0,1]
	v_pk_add_f16 v10, v6, v10 neg_lo:[0,1] neg_hi:[0,1]
	v_pk_add_f16 v9, v5, v9 neg_lo:[0,1] neg_hi:[0,1]
	v_pk_add_f16 v11, v7, v11 neg_lo:[0,1] neg_hi:[0,1]
	v_fma_f16 v21, v21, 2.0, -v14
	v_fma_f16 v29, v29, 2.0, -v15
	v_fma_f16 v31, v13, s6, v1
	v_pk_fma_f16 v4, v4, 2.0, v8 op_sel_hi:[1,0,1] neg_lo:[0,0,1] neg_hi:[0,0,1]
	v_pk_fma_f16 v6, v6, 2.0, v10 op_sel_hi:[1,0,1] neg_lo:[0,0,1] neg_hi:[0,0,1]
	;; [unrolled: 1-line block ×4, first 2 shown]
	v_fma_f16 v31, v29, s7, v31
	v_fma_f16 v29, v29, s6, v21
	v_pk_add_f16 v6, v4, v6 neg_lo:[0,1] neg_hi:[0,1]
	v_pk_add_f16 v7, v5, v7 neg_lo:[0,1] neg_hi:[0,1]
	v_fma_f16 v13, v13, s10, v29
	v_pk_fma_f16 v4, v4, 2.0, v6 op_sel_hi:[1,0,1] neg_lo:[0,0,1] neg_hi:[0,0,1]
	v_pk_fma_f16 v5, v5, 2.0, v7 op_sel_hi:[1,0,1] neg_lo:[0,0,1] neg_hi:[0,0,1]
	v_fma_f16 v1, v1, 2.0, -v31
	v_fma_f16 v21, v21, 2.0, -v13
	v_pk_add_f16 v5, v4, v5 neg_lo:[0,1] neg_hi:[0,1]
	v_pack_b32_f16 v1, v1, v21
	v_pk_fma_f16 v21, v4, 2.0, v5 op_sel_hi:[1,0,1] neg_lo:[0,0,1] neg_hi:[0,0,1]
	v_mad_u32_u24 v4, v0, 60, v22
	s_barrier
	ds_write2_b32 v4, v21, v1 offset1:1
	v_fma_f16 v1, v23, s5, v19
	v_fma_f16 v21, v16, s4, v1
	v_fma_f16 v1, v16, s5, v12
	v_fma_f16 v16, v23, s5, v1
	v_fma_f16 v1, v30, s5, v27
	v_fma_f16 v23, v18, s4, v1
	v_fma_f16 v1, v18, s5, v17
	v_fma_f16 v18, v30, s5, v1
	v_sub_f16_sdwa v1, v8, v10 dst_sel:DWORD dst_unused:UNUSED_PAD src0_sel:DWORD src1_sel:WORD_1
	v_lshrrev_b32_e32 v29, 16, v8
	v_sub_f16_sdwa v30, v9, v11 dst_sel:DWORD dst_unused:UNUSED_PAD src0_sel:DWORD src1_sel:WORD_1
	v_lshrrev_b32_e32 v33, 16, v9
	v_add_f16_e32 v10, v29, v10
	v_fma_f16 v8, v8, 2.0, -v1
	v_add_f16_e32 v11, v33, v11
	v_fma_f16 v9, v9, 2.0, -v30
	v_fma_f16 v29, v29, 2.0, -v10
	;; [unrolled: 1-line block ×3, first 2 shown]
	v_fma_f16 v34, v9, s4, v8
	v_fma_f16 v34, v33, s4, v34
	;; [unrolled: 1-line block ×3, first 2 shown]
	v_fma_f16 v19, v19, 2.0, -v21
	v_fma_f16 v27, v27, 2.0, -v23
	v_fma_f16 v9, v9, s5, v33
	v_fma_f16 v12, v12, 2.0, -v16
	v_fma_f16 v17, v17, 2.0, -v18
	v_fma_f16 v33, v27, s7, v19
	v_fma_f16 v33, v17, s6, v33
	;; [unrolled: 1-line block ×4, first 2 shown]
	v_fma_f16 v19, v19, 2.0, -v33
	v_fma_f16 v12, v12, 2.0, -v17
	v_pack_b32_f16 v12, v19, v12
	v_fma_f16 v8, v8, 2.0, -v34
	v_fma_f16 v19, v29, 2.0, -v9
	v_pack_b32_f16 v8, v8, v19
	ds_write2_b32 v4, v8, v12 offset0:2 offset1:3
	v_fma_f16 v8, v32, s10, v28
	v_lshrrev_b32_e32 v19, 16, v6
	v_fma_f16 v8, v15, s6, v8
	v_fma_f16 v12, v15, s10, v14
	v_sub_f16_sdwa v15, v6, v7 dst_sel:DWORD dst_unused:UNUSED_PAD src0_sel:DWORD src1_sel:WORD_1
	v_add_f16_e32 v7, v19, v7
	v_fma_f16 v12, v32, s11, v12
	v_fma_f16 v6, v6, 2.0, -v15
	v_fma_f16 v19, v19, 2.0, -v7
	v_pack_b32_f16 v6, v6, v19
	v_fma_f16 v19, v28, 2.0, -v8
	v_fma_f16 v14, v14, 2.0, -v12
	v_pack_b32_f16 v14, v19, v14
	ds_write2_b32 v4, v6, v14 offset0:4 offset1:5
	v_fma_f16 v6, v30, s5, v1
	v_fma_f16 v6, v11, s4, v6
	v_fma_f16 v14, v1, 2.0, -v6
	v_fma_f16 v1, v23, s11, v21
	v_fma_f16 v11, v11, s5, v10
	;; [unrolled: 1-line block ×6, first 2 shown]
	v_fma_f16 v10, v10, 2.0, -v11
	v_fma_f16 v18, v21, 2.0, -v1
	;; [unrolled: 1-line block ×3, first 2 shown]
	v_pack_b32_f16 v16, v18, v16
	v_pack_b32_f16 v10, v14, v10
	ds_write2_b32 v4, v10, v16 offset0:6 offset1:7
	v_pack_b32_f16 v10, v31, v13
	ds_write2_b32 v4, v5, v10 offset0:8 offset1:9
	v_pack_b32_f16 v5, v33, v17
	v_pack_b32_f16 v9, v34, v9
	ds_write2_b32 v4, v9, v5 offset0:10 offset1:11
	v_pack_b32_f16 v5, v15, v7
	v_pack_b32_f16 v7, v8, v12
	ds_write2_b32 v4, v5, v7 offset0:12 offset1:13
	v_pack_b32_f16 v5, v1, v23
	v_pack_b32_f16 v6, v6, v11
	ds_write2_b32 v4, v6, v5 offset0:14 offset1:15
	v_add_u32_e32 v5, 0x200, v22
	s_waitcnt lgkmcnt(0)
	s_barrier
	ds_read2_b32 v[10:11], v22 offset1:80
	ds_read2_b32 v[8:9], v5 offset0:32 offset1:128
	ds_read2_b32 v[20:21], v20 offset1:80
	v_add_u32_e32 v5, 0xa00, v22
	ds_read2_b32 v[16:17], v5 offset0:32 offset1:128
	ds_read2_b32 v[14:15], v26 offset1:80
	ds_read2_b32 v[12:13], v24 offset0:80 offset1:160
	ds_read2_b32 v[18:19], v25 offset0:80 offset1:160
	ds_read_b32 v40, v22 offset:4736
                                        ; implicit-def: $vgpr24
                                        ; implicit-def: $vgpr5
                                        ; implicit-def: $vgpr27
                                        ; implicit-def: $vgpr25
                                        ; implicit-def: $vgpr7
                                        ; implicit-def: $vgpr26
	s_and_saveexec_b64 s[4:5], vcc
	s_cbranch_execz .LBB0_19
; %bb.18:
	s_movk_i32 s6, 0xffc4
	v_mad_i32_i24 v4, v0, s6, v4
	v_add_u32_e32 v4, 0xc0, v4
	ds_read_b32 v1, v22 offset:960
	ds_read2st64_b32 v[6:7], v4 offset0:7 offset1:11
	ds_read2st64_b32 v[4:5], v4 offset0:15 offset1:19
	s_waitcnt lgkmcnt(2)
	v_lshrrev_b32_e32 v23, 16, v1
	s_waitcnt lgkmcnt(1)
	v_lshrrev_b32_e32 v26, 16, v6
	v_lshrrev_b32_e32 v25, 16, v7
	s_waitcnt lgkmcnt(0)
	v_lshrrev_b32_e32 v27, 16, v4
	v_lshrrev_b32_e32 v24, 16, v5
.LBB0_19:
	s_or_b64 exec, exec, s[4:5]
	v_lshlrev_b32_e32 v28, 4, v0
	v_and_b32_e32 v34, 0xf0, v28
	global_load_dword v31, v34, s[8:9] offset:2
	global_load_dword v29, v34, s[8:9] offset:4
	;; [unrolled: 1-line block ×6, first 2 shown]
	s_waitcnt lgkmcnt(5)
	v_lshrrev_b32_e32 v35, 16, v20
	v_lshrrev_b32_e32 v38, 16, v21
	s_waitcnt lgkmcnt(4)
	v_lshrrev_b32_e32 v37, 16, v17
	v_lshrrev_b32_e32 v39, 16, v16
	;; [unrolled: 3-line block ×3, first 2 shown]
	v_lshrrev_b32_e32 v44, 16, v15
	v_lshrrev_b32_e32 v43, 16, v14
	;; [unrolled: 1-line block ×3, first 2 shown]
	s_movk_i32 s10, 0x3b9c
	s_mov_b32 s12, 0xbb9c
	s_movk_i32 s7, 0x38b4
	s_mov_b32 s11, 0xb8b4
	s_movk_i32 s6, 0x34f2
	s_waitcnt vmcnt(5)
	v_lshrrev_b32_e32 v45, 16, v31
	s_waitcnt vmcnt(4)
	v_mul_f16_sdwa v36, v29, v35 dst_sel:DWORD dst_unused:UNUSED_PAD src0_sel:WORD_1 src1_sel:DWORD
	v_mul_f16_sdwa v46, v29, v20 dst_sel:DWORD dst_unused:UNUSED_PAD src0_sel:WORD_1 src1_sel:DWORD
	;; [unrolled: 1-line block ×4, first 2 shown]
	v_fma_f16 v49, v45, v20, -v36
	v_fma_f16 v36, v45, v21, -v47
	s_waitcnt vmcnt(3)
	v_lshrrev_b32_e32 v47, 16, v32
	v_mul_f16_sdwa v20, v29, v16 dst_sel:DWORD dst_unused:UNUSED_PAD src0_sel:WORD_1 src1_sel:DWORD
	v_fma_f16 v46, v45, v35, v46
	v_mul_f16_sdwa v21, v29, v39 dst_sel:DWORD dst_unused:UNUSED_PAD src0_sel:WORD_1 src1_sel:DWORD
	v_fma_f16 v35, v45, v38, v48
	s_waitcnt vmcnt(2)
	v_mul_f16_sdwa v38, v30, v37 dst_sel:DWORD dst_unused:UNUSED_PAD src0_sel:WORD_1 src1_sel:DWORD
	v_fma_f16 v20, v45, v39, v20
	v_mul_f16_sdwa v48, v30, v17 dst_sel:DWORD dst_unused:UNUSED_PAD src0_sel:WORD_1 src1_sel:DWORD
	v_fma_f16 v21, v45, v16, -v21
	v_mul_f16_sdwa v16, v30, v41 dst_sel:DWORD dst_unused:UNUSED_PAD src0_sel:WORD_1 src1_sel:DWORD
	v_fma_f16 v45, v47, v17, -v38
	v_mul_f16_sdwa v38, v30, v18 dst_sel:DWORD dst_unused:UNUSED_PAD src0_sel:WORD_1 src1_sel:DWORD
	v_mul_f16_sdwa v17, v42, v30 dst_sel:DWORD dst_unused:UNUSED_PAD src0_sel:DWORD src1_sel:WORD_1
	v_fma_f16 v39, v47, v18, -v16
	v_mul_f16_sdwa v16, v19, v30 dst_sel:DWORD dst_unused:UNUSED_PAD src0_sel:DWORD src1_sel:WORD_1
	v_fma_f16 v48, v47, v37, v48
	s_waitcnt vmcnt(1)
	v_lshrrev_b32_e32 v50, 16, v33
	v_fma_f16 v37, v47, v41, v38
	s_waitcnt vmcnt(0)
	v_mul_f16_sdwa v38, v28, v44 dst_sel:DWORD dst_unused:UNUSED_PAD src0_sel:WORD_1 src1_sel:DWORD
	v_fma_f16 v17, v19, v47, -v17
	s_waitcnt lgkmcnt(0)
	v_lshrrev_b32_e32 v18, 16, v40
	v_fma_f16 v16, v42, v47, v16
	v_fma_f16 v47, v50, v15, -v38
	v_mul_f16_sdwa v15, v28, v15 dst_sel:DWORD dst_unused:UNUSED_PAD src0_sel:WORD_1 src1_sel:DWORD
	v_mul_f16_sdwa v19, v28, v43 dst_sel:DWORD dst_unused:UNUSED_PAD src0_sel:WORD_1 src1_sel:DWORD
	v_fma_f16 v38, v50, v44, v15
	v_mul_f16_sdwa v15, v18, v28 dst_sel:DWORD dst_unused:UNUSED_PAD src0_sel:DWORD src1_sel:WORD_1
	v_mul_f16_sdwa v41, v28, v14 dst_sel:DWORD dst_unused:UNUSED_PAD src0_sel:WORD_1 src1_sel:DWORD
	v_fma_f16 v42, v50, v14, -v19
	v_and_b32_e32 v14, 15, v0
	v_fma_f16 v19, v40, v50, -v15
	v_mul_f16_sdwa v15, v40, v28 dst_sel:DWORD dst_unused:UNUSED_PAD src0_sel:DWORD src1_sel:WORD_1
	v_fma_f16 v41, v50, v43, v41
	v_lshlrev_b32_e32 v43, 4, v14
	v_fma_f16 v18, v18, v50, v15
	global_load_dword v15, v34, s[8:9]
	global_load_ushort v40, v43, s[8:9]
	v_lshrrev_b32_e32 v43, 16, v12
	v_lshrrev_b32_e32 v50, 16, v13
	v_sub_f16_e32 v52, v41, v48
	v_sub_f16_e32 v61, v49, v45
	;; [unrolled: 1-line block ×3, first 2 shown]
	v_add_f16_e32 v58, v46, v48
	v_fma_f16 v58, v58, -0.5, v53
	s_waitcnt vmcnt(0)
	s_barrier
	v_mul_f16_sdwa v44, v15, v43 dst_sel:DWORD dst_unused:UNUSED_PAD src0_sel:WORD_1 src1_sel:DWORD
	v_mul_f16_sdwa v51, v15, v50 dst_sel:DWORD dst_unused:UNUSED_PAD src0_sel:WORD_1 src1_sel:DWORD
	v_fma_f16 v44, v40, v12, -v44
	v_fma_f16 v51, v40, v13, -v51
	v_mul_f16_sdwa v12, v15, v12 dst_sel:DWORD dst_unused:UNUSED_PAD src0_sel:WORD_1 src1_sel:DWORD
	v_mul_f16_sdwa v13, v15, v13 dst_sel:DWORD dst_unused:UNUSED_PAD src0_sel:WORD_1 src1_sel:DWORD
	v_fma_f16 v12, v40, v43, v12
	v_fma_f16 v13, v40, v50, v13
	v_lshrrev_b32_e32 v43, 16, v9
	v_mul_f16_sdwa v50, v15, v9 dst_sel:DWORD dst_unused:UNUSED_PAD src0_sel:WORD_1 src1_sel:DWORD
	v_fma_f16 v50, v40, v43, v50
	v_mul_f16_sdwa v43, v15, v43 dst_sel:DWORD dst_unused:UNUSED_PAD src0_sel:WORD_1 src1_sel:DWORD
	v_fma_f16 v9, v40, v9, -v43
	v_sub_f16_e32 v40, v9, v49
	v_sub_f16_e32 v43, v42, v45
	v_add_f16_e32 v40, v40, v43
	v_sub_f16_e32 v43, v50, v46
	v_add_f16_e32 v43, v43, v52
	v_add_f16_e32 v52, v10, v9
	;; [unrolled: 1-line block ×9, first 2 shown]
	v_pack_b32_f16 v52, v52, v54
	v_add_f16_e32 v54, v49, v45
	v_sub_f16_e32 v59, v9, v42
	v_sub_f16_e32 v49, v49, v9
	v_add_f16_e32 v9, v9, v42
	v_fma_f16 v9, v9, -0.5, v10
	v_fma_f16 v54, v54, -0.5, v10
	v_sub_f16_e32 v55, v50, v41
	v_sub_f16_e32 v42, v45, v42
	v_fma_f16 v10, v57, s12, v9
	v_fma_f16 v9, v57, s10, v9
	;; [unrolled: 1-line block ×4, first 2 shown]
	v_add_f16_e32 v42, v49, v42
	v_fma_f16 v10, v55, s7, v10
	v_fma_f16 v9, v55, s11, v9
	;; [unrolled: 1-line block ×6, first 2 shown]
	v_add_f16_e32 v42, v50, v41
	v_fma_f16 v56, v40, s6, v56
	v_fma_f16 v60, v43, s6, v60
	v_fma_f16 v42, v42, -0.5, v53
	v_sub_f16_e32 v45, v46, v50
	v_sub_f16_e32 v41, v48, v41
	v_pack_b32_f16 v56, v56, v60
	v_lshrrev_b32_e32 v60, 4, v0
	v_add_f16_e32 v41, v45, v41
	v_fma_f16 v45, v61, s10, v42
	v_fma_f16 v42, v61, s12, v42
	v_mul_u32_u24_e32 v60, 0x50, v60
	v_fma_f16 v45, v59, s11, v45
	v_fma_f16 v42, v59, s7, v42
	v_or_b32_e32 v60, v60, v14
	v_fma_f16 v45, v41, s6, v45
	v_fma_f16 v41, v41, s6, v42
	v_lshl_add_u32 v60, v60, 2, 0
	v_pack_b32_f16 v10, v10, v45
	v_pack_b32_f16 v9, v9, v41
	ds_write2_b32 v60, v10, v9 offset0:32 offset1:48
	v_fma_f16 v9, v55, s12, v54
	v_fma_f16 v10, v59, s10, v58
	v_fma_f16 v9, v57, s11, v9
	v_fma_f16 v10, v61, s7, v10
	v_fma_f16 v9, v40, s6, v9
	v_fma_f16 v10, v43, s6, v10
	v_pack_b32_f16 v9, v9, v10
	ds_write_b32 v60, v9 offset:256
	v_add_f16_e32 v9, v36, v39
	v_sub_f16_e32 v41, v44, v36
	v_sub_f16_e32 v42, v47, v39
	v_fma_f16 v9, v9, -0.5, v11
	v_add_f16_e32 v41, v41, v42
	v_sub_f16_e32 v42, v12, v38
	v_fma_f16 v43, v42, s10, v9
	v_sub_f16_e32 v45, v35, v37
	v_fma_f16 v9, v42, s12, v9
	v_add_f16_e32 v10, v44, v47
	v_fma_f16 v43, v45, s7, v43
	v_fma_f16 v9, v45, s11, v9
	v_fma_f16 v10, v10, -0.5, v11
	v_fma_f16 v43, v41, s6, v43
	v_fma_f16 v9, v41, s6, v9
	v_sub_f16_e32 v41, v36, v44
	v_sub_f16_e32 v46, v39, v47
	v_lshrrev_b32_e32 v40, 16, v11
	v_add_f16_e32 v11, v11, v44
	v_add_f16_e32 v41, v41, v46
	v_fma_f16 v46, v45, s12, v10
	v_fma_f16 v10, v45, s10, v10
	;; [unrolled: 1-line block ×4, first 2 shown]
	v_add_f16_e32 v11, v11, v36
	v_fma_f16 v42, v41, s6, v45
	v_fma_f16 v10, v41, s6, v10
	v_add_f16_e32 v11, v11, v39
	v_sub_f16_e32 v41, v44, v47
	v_sub_f16_e32 v36, v36, v39
	;; [unrolled: 1-line block ×4, first 2 shown]
	v_add_f16_e32 v39, v39, v44
	v_add_f16_e32 v44, v35, v37
	v_fma_f16 v44, v44, -0.5, v40
	v_fma_f16 v45, v41, s12, v44
	v_fma_f16 v44, v41, s10, v44
	;; [unrolled: 1-line block ×6, first 2 shown]
	v_add_f16_e32 v44, v12, v38
	v_fma_f16 v44, v44, -0.5, v40
	v_add_f16_e32 v40, v40, v12
	v_add_f16_e32 v40, v40, v35
	v_sub_f16_e32 v12, v35, v12
	v_add_f16_e32 v35, v40, v37
	v_sub_f16_e32 v37, v37, v38
	v_add_f16_e32 v12, v12, v37
	v_fma_f16 v37, v36, s10, v44
	v_fma_f16 v36, v36, s12, v44
	;; [unrolled: 1-line block ×6, first 2 shown]
	v_add_f16_e32 v36, v21, v17
	v_sub_f16_e32 v41, v51, v21
	v_sub_f16_e32 v44, v19, v17
	v_fma_f16 v36, v36, -0.5, v8
	v_add_f16_e32 v41, v41, v44
	v_sub_f16_e32 v44, v13, v18
	v_add_f16_e32 v11, v11, v47
	v_fma_f16 v46, v44, s10, v36
	v_sub_f16_e32 v47, v20, v16
	v_fma_f16 v36, v44, s12, v36
	v_add_f16_e32 v35, v35, v38
	v_add_f16_e32 v38, v51, v19
	v_fma_f16 v46, v47, s7, v46
	v_fma_f16 v36, v47, s11, v36
	v_fma_f16 v38, v38, -0.5, v8
	v_fma_f16 v46, v41, s6, v46
	v_fma_f16 v36, v41, s6, v36
	v_sub_f16_e32 v41, v21, v51
	v_sub_f16_e32 v48, v17, v19
	v_lshrrev_b32_e32 v40, 16, v8
	v_add_f16_e32 v8, v8, v51
	v_add_f16_e32 v41, v41, v48
	v_fma_f16 v48, v47, s12, v38
	v_fma_f16 v38, v47, s10, v38
	;; [unrolled: 1-line block ×4, first 2 shown]
	v_add_f16_e32 v8, v8, v21
	v_fma_f16 v44, v41, s6, v47
	v_fma_f16 v38, v41, s6, v38
	v_add_f16_e32 v8, v8, v17
	v_sub_f16_e32 v17, v21, v17
	v_sub_f16_e32 v21, v13, v20
	;; [unrolled: 1-line block ×3, first 2 shown]
	v_add_f16_e32 v21, v21, v41
	v_add_f16_e32 v41, v20, v16
	;; [unrolled: 1-line block ×3, first 2 shown]
	v_sub_f16_e32 v19, v51, v19
	v_fma_f16 v41, v41, -0.5, v40
	v_fma_f16 v47, v19, s12, v41
	v_fma_f16 v41, v19, s10, v41
	;; [unrolled: 1-line block ×6, first 2 shown]
	v_add_f16_e32 v41, v13, v18
	v_fma_f16 v41, v41, -0.5, v40
	v_add_f16_e32 v40, v40, v13
	v_add_f16_e32 v40, v40, v20
	v_sub_f16_e32 v13, v20, v13
	v_add_f16_e32 v20, v40, v16
	v_sub_f16_e32 v16, v16, v18
	v_add_f16_e32 v13, v13, v16
	v_fma_f16 v16, v17, s10, v41
	v_fma_f16 v17, v17, s12, v41
	;; [unrolled: 1-line block ×6, first 2 shown]
	v_add_u32_e32 v17, 0x50, v0
	v_lshrrev_b32_e32 v17, 4, v17
	v_mul_u32_u24_e32 v17, 0x50, v17
	v_or_b32_e32 v17, v17, v14
	v_add_f16_e32 v20, v20, v18
	v_add_u32_e32 v18, 0xa0, v0
	v_lshl_add_u32 v17, v17, 2, 0
	v_pack_b32_f16 v9, v9, v39
	ds_write2_b32 v60, v52, v56 offset1:16
	ds_write_b32 v17, v9 offset:256
	v_lshrrev_b32_e32 v9, 4, v18
	v_pack_b32_f16 v11, v11, v35
	v_pack_b32_f16 v19, v43, v45
	v_mul_u32_u24_e32 v9, 0x50, v9
	ds_write2_b32 v17, v11, v19 offset1:16
	v_pack_b32_f16 v11, v42, v37
	v_pack_b32_f16 v10, v10, v12
	v_or_b32_e32 v9, v9, v14
	ds_write2_b32 v17, v11, v10 offset0:32 offset1:48
	v_lshl_add_u32 v9, v9, 2, 0
	v_pack_b32_f16 v8, v8, v20
	v_pack_b32_f16 v10, v46, v47
	ds_write2_b32 v9, v8, v10 offset1:16
	v_pack_b32_f16 v8, v44, v16
	v_pack_b32_f16 v10, v38, v13
	ds_write2_b32 v9, v8, v10 offset0:32 offset1:48
	v_pack_b32_f16 v8, v36, v21
	ds_write_b32 v9, v8 offset:256
	s_and_saveexec_b64 s[4:5], vcc
	s_cbranch_execz .LBB0_21
; %bb.20:
	v_mov_b32_e32 v8, s9
	v_add_co_u32_e32 v9, vcc, s8, v34
	v_addc_co_u32_e32 v10, vcc, 0, v8, vcc
	v_add_co_u32_e32 v8, vcc, 12, v9
	v_addc_co_u32_e32 v9, vcc, 0, v10, vcc
	global_load_ushort v8, v[8:9], off offset:2
	v_mul_f16_e32 v9, v4, v33
	v_mul_f16_e32 v10, v7, v32
	;; [unrolled: 1-line block ×4, first 2 shown]
	v_fma_f16 v9, v27, v30, v9
	v_fma_f16 v10, v25, v29, v10
	;; [unrolled: 1-line block ×3, first 2 shown]
	v_mul_f16_e32 v13, v25, v32
	v_mul_f16_e32 v14, v27, v33
	v_fma_f16 v6, v6, v15, -v12
	v_add_f16_e32 v12, v23, v11
	v_add_f16_e32 v18, v10, v9
	v_fma_f16 v7, v7, v29, -v13
	v_fma_f16 v4, v4, v30, -v14
	v_add_f16_e32 v13, v1, v6
	v_sub_f16_e32 v14, v10, v11
	v_sub_f16_e32 v17, v11, v10
	;; [unrolled: 1-line block ×3, first 2 shown]
	v_add_f16_e32 v10, v12, v10
	v_fma_f16 v12, v18, -0.5, v23
	v_sub_f16_e32 v15, v7, v4
	v_sub_f16_e32 v19, v7, v6
	;; [unrolled: 1-line block ×3, first 2 shown]
	v_add_f16_e32 v25, v7, v4
	v_add_f16_e32 v7, v13, v7
	;; [unrolled: 1-line block ×3, first 2 shown]
	v_fma_f16 v13, v25, -0.5, v1
	v_add_f16_e32 v7, v7, v4
	v_add_u32_e32 v16, 0x1000, v22
	s_waitcnt vmcnt(0)
	v_mul_f16_e32 v18, v5, v8
	v_mul_f16_e32 v8, v24, v8
	v_fma_f16 v18, v24, v28, v18
	v_fma_f16 v5, v5, v28, -v8
	v_add_f16_e32 v8, v10, v18
	v_sub_f16_e32 v10, v9, v18
	v_sub_f16_e32 v24, v6, v5
	v_add_f16_e32 v25, v11, v18
	v_add_f16_e32 v6, v6, v5
	v_sub_f16_e32 v11, v11, v18
	v_add_f16_e32 v7, v7, v5
	v_sub_f16_e32 v9, v18, v9
	v_sub_f16_e32 v26, v4, v5
	;; [unrolled: 1-line block ×3, first 2 shown]
	v_add_f16_e32 v5, v14, v10
	v_fma_f16 v10, v25, -0.5, v23
	v_fma_f16 v14, v24, s10, v12
	v_fma_f16 v12, v24, s12, v12
	v_fma_f16 v1, v6, -0.5, v1
	v_fma_f16 v6, v11, s12, v13
	v_fma_f16 v13, v11, s10, v13
	v_add_f16_e32 v9, v17, v9
	v_add_f16_e32 v4, v21, v4
	v_pack_b32_f16 v7, v7, v8
	v_fma_f16 v8, v15, s12, v10
	v_fma_f16 v10, v15, s10, v10
	;; [unrolled: 1-line block ×8, first 2 shown]
	v_add_f16_e32 v17, v19, v26
	v_fma_f16 v8, v24, s7, v8
	v_fma_f16 v10, v24, s11, v10
	;; [unrolled: 1-line block ×12, first 2 shown]
	v_pack_b32_f16 v4, v4, v9
	ds_write2_b32 v16, v7, v4 offset0:176 offset1:192
	v_pack_b32_f16 v1, v1, v5
	v_pack_b32_f16 v4, v10, v8
	;; [unrolled: 1-line block ×3, first 2 shown]
	ds_write2_b32 v16, v1, v4 offset0:208 offset1:224
	ds_write_b32 v22, v6 offset:5056
.LBB0_21:
	s_or_b64 exec, exec, s[4:5]
	v_mul_u32_u24_e32 v1, 15, v0
	v_lshlrev_b32_e32 v1, 2, v1
	s_waitcnt lgkmcnt(0)
	s_barrier
	global_load_dwordx4 v[4:7], v1, s[8:9] offset:256
	global_load_dwordx4 v[8:11], v1, s[8:9] offset:272
	;; [unrolled: 1-line block ×3, first 2 shown]
	global_load_dwordx3 v[16:18], v1, s[8:9] offset:304
	ds_read2_b32 v[19:20], v22 offset1:80
	ds_read2_b32 v[23:24], v22 offset0:160 offset1:240
	v_add_u32_e32 v1, 0x400, v22
	v_add_u32_e32 v21, 0x600, v22
	;; [unrolled: 1-line block ×6, first 2 shown]
	ds_read2_b32 v[25:26], v1 offset0:64 offset1:144
	ds_read2_b32 v[27:28], v21 offset0:96 offset1:176
	;; [unrolled: 1-line block ×6, first 2 shown]
	s_waitcnt lgkmcnt(6)
	v_lshrrev_b32_e32 v42, 16, v23
	v_lshrrev_b32_e32 v43, 16, v24
	;; [unrolled: 1-line block ×3, first 2 shown]
	s_waitcnt lgkmcnt(5)
	v_lshrrev_b32_e32 v44, 16, v26
	v_lshrrev_b32_e32 v55, 16, v25
	s_waitcnt lgkmcnt(4)
	v_lshrrev_b32_e32 v45, 16, v27
	v_lshrrev_b32_e32 v46, 16, v28
	;; [unrolled: 3-line block ×3, first 2 shown]
	s_waitcnt lgkmcnt(2)
	v_lshrrev_b32_e32 v49, 16, v31
	s_waitcnt lgkmcnt(1)
	v_lshrrev_b32_e32 v51, 16, v33
	v_lshrrev_b32_e32 v50, 16, v32
	;; [unrolled: 1-line block ×3, first 2 shown]
	s_waitcnt lgkmcnt(0)
	v_lshrrev_b32_e32 v53, 16, v35
	v_lshrrev_b32_e32 v54, 16, v36
	s_mov_b32 s4, 0xb9a8
	s_movk_i32 s5, 0x39a8
	s_mov_b32 s6, 0xbb64
	s_mov_b32 s7, 0xb61f
	s_movk_i32 s8, 0x361f
	s_movk_i32 s9, 0x3b64
	s_waitcnt vmcnt(0)
	s_barrier
	v_mul_f16_sdwa v57, v4, v20 dst_sel:DWORD dst_unused:UNUSED_PAD src0_sel:WORD_1 src1_sel:DWORD
	v_mul_f16_sdwa v58, v5, v42 dst_sel:DWORD dst_unused:UNUSED_PAD src0_sel:WORD_1 src1_sel:DWORD
	;; [unrolled: 1-line block ×5, first 2 shown]
	v_fma_f16 v23, v5, v23, -v58
	v_fma_f16 v58, v6, v24, -v60
	v_mul_f16_sdwa v24, v6, v24 dst_sel:DWORD dst_unused:UNUSED_PAD src0_sel:WORD_1 src1_sel:DWORD
	v_mul_f16_sdwa v60, v7, v55 dst_sel:DWORD dst_unused:UNUSED_PAD src0_sel:WORD_1 src1_sel:DWORD
	v_fma_f16 v41, v4, v41, v57
	v_mul_f16_sdwa v57, v7, v25 dst_sel:DWORD dst_unused:UNUSED_PAD src0_sel:WORD_1 src1_sel:DWORD
	v_fma_f16 v5, v5, v42, v59
	v_mul_f16_sdwa v42, v44, v8 dst_sel:DWORD dst_unused:UNUSED_PAD src0_sel:DWORD src1_sel:WORD_1
	v_fma_f16 v6, v6, v43, v24
	v_mul_f16_sdwa v24, v26, v8 dst_sel:DWORD dst_unused:UNUSED_PAD src0_sel:DWORD src1_sel:WORD_1
	;; [unrolled: 2-line block ×3, first 2 shown]
	v_fma_f16 v4, v4, v20, -v56
	v_fma_f16 v7, v7, v25, -v60
	v_mul_f16_sdwa v20, v27, v9 dst_sel:DWORD dst_unused:UNUSED_PAD src0_sel:DWORD src1_sel:WORD_1
	v_mul_f16_sdwa v25, v46, v10 dst_sel:DWORD dst_unused:UNUSED_PAD src0_sel:DWORD src1_sel:WORD_1
	;; [unrolled: 1-line block ×3, first 2 shown]
	v_fma_f16 v26, v26, v8, -v42
	v_mul_f16_sdwa v42, v29, v11 dst_sel:DWORD dst_unused:UNUSED_PAD src0_sel:DWORD src1_sel:WORD_1
	v_mul_f16_sdwa v59, v48, v12 dst_sel:DWORD dst_unused:UNUSED_PAD src0_sel:DWORD src1_sel:WORD_1
	;; [unrolled: 1-line block ×3, first 2 shown]
	v_fma_f16 v27, v27, v9, -v55
	v_fma_f16 v25, v28, v10, -v25
	v_mul_f16_sdwa v28, v30, v12 dst_sel:DWORD dst_unused:UNUSED_PAD src0_sel:DWORD src1_sel:WORD_1
	v_mul_f16_sdwa v55, v49, v13 dst_sel:DWORD dst_unused:UNUSED_PAD src0_sel:DWORD src1_sel:WORD_1
	v_fma_f16 v8, v44, v8, v24
	v_mul_f16_sdwa v24, v31, v13 dst_sel:DWORD dst_unused:UNUSED_PAD src0_sel:DWORD src1_sel:WORD_1
	v_fma_f16 v9, v45, v9, v20
	v_fma_f16 v42, v47, v11, v42
	v_mul_f16_sdwa v45, v51, v15 dst_sel:DWORD dst_unused:UNUSED_PAD src0_sel:DWORD src1_sel:WORD_1
	v_fma_f16 v11, v29, v11, -v57
	v_fma_f16 v29, v30, v12, -v59
	v_mul_f16_sdwa v30, v33, v15 dst_sel:DWORD dst_unused:UNUSED_PAD src0_sel:DWORD src1_sel:WORD_1
	v_mul_f16_sdwa v20, v50, v14 dst_sel:DWORD dst_unused:UNUSED_PAD src0_sel:DWORD src1_sel:WORD_1
	v_fma_f16 v12, v48, v12, v28
	v_fma_f16 v28, v31, v13, -v55
	v_fma_f16 v13, v49, v13, v24
	v_fma_f16 v24, v33, v15, -v45
	v_fma_f16 v15, v51, v15, v30
	v_mul_f16_sdwa v30, v52, v16 dst_sel:DWORD dst_unused:UNUSED_PAD src0_sel:DWORD src1_sel:WORD_1
	v_mul_f16_sdwa v31, v34, v16 dst_sel:DWORD dst_unused:UNUSED_PAD src0_sel:DWORD src1_sel:WORD_1
	;; [unrolled: 1-line block ×3, first 2 shown]
	v_fma_f16 v20, v32, v14, -v20
	v_fma_f16 v30, v34, v16, -v30
	v_fma_f16 v16, v52, v16, v31
	v_mul_f16_sdwa v31, v53, v17 dst_sel:DWORD dst_unused:UNUSED_PAD src0_sel:DWORD src1_sel:WORD_1
	v_mul_f16_sdwa v32, v35, v17 dst_sel:DWORD dst_unused:UNUSED_PAD src0_sel:DWORD src1_sel:WORD_1
	v_fma_f16 v31, v35, v17, -v31
	v_fma_f16 v17, v53, v17, v32
	v_mul_f16_sdwa v32, v54, v18 dst_sel:DWORD dst_unused:UNUSED_PAD src0_sel:DWORD src1_sel:WORD_1
	v_mul_f16_sdwa v33, v36, v18 dst_sel:DWORD dst_unused:UNUSED_PAD src0_sel:DWORD src1_sel:WORD_1
	v_fma_f16 v32, v36, v18, -v32
	v_fma_f16 v18, v54, v18, v33
	v_lshrrev_b32_e32 v33, 16, v19
	v_sub_f16_e32 v11, v19, v11
	v_sub_f16_e32 v34, v33, v42
	;; [unrolled: 1-line block ×8, first 2 shown]
	v_fma_f16 v10, v46, v10, v56
	v_fma_f16 v14, v50, v14, v44
	v_fma_f16 v7, v7, 2.0, -v24
	v_fma_f16 v35, v43, 2.0, -v15
	;; [unrolled: 1-line block ×4, first 2 shown]
	v_sub_f16_e32 v15, v11, v15
	v_add_f16_e32 v24, v34, v24
	v_sub_f16_e32 v17, v28, v17
	v_add_f16_e32 v31, v13, v31
	v_fma_f16 v19, v19, 2.0, -v11
	v_fma_f16 v33, v33, 2.0, -v34
	;; [unrolled: 1-line block ×4, first 2 shown]
	v_sub_f16_e32 v29, v4, v29
	v_sub_f16_e32 v12, v41, v12
	;; [unrolled: 1-line block ×8, first 2 shown]
	v_fma_f16 v11, v11, 2.0, -v15
	v_fma_f16 v34, v34, 2.0, -v24
	;; [unrolled: 1-line block ×8, first 2 shown]
	v_sub_f16_e32 v16, v29, v16
	v_add_f16_e32 v30, v12, v30
	v_sub_f16_e32 v18, v20, v18
	v_add_f16_e32 v32, v14, v32
	v_fma_f16 v42, v28, s4, v11
	v_fma_f16 v43, v13, s4, v34
	v_fma_f16 v4, v4, 2.0, -v29
	v_fma_f16 v36, v41, 2.0, -v12
	;; [unrolled: 1-line block ×8, first 2 shown]
	v_fma_f16 v13, v13, s4, v42
	v_fma_f16 v28, v28, s5, v43
	;; [unrolled: 1-line block ×8, first 2 shown]
	v_sub_f16_e32 v7, v19, v7
	v_sub_f16_e32 v35, v33, v35
	;; [unrolled: 1-line block ×8, first 2 shown]
	v_fma_f16 v14, v14, s4, v42
	v_fma_f16 v20, v20, s5, v43
	v_fma_f16 v23, v23, 2.0, -v27
	v_fma_f16 v5, v5, 2.0, -v9
	;; [unrolled: 1-line block ×6, first 2 shown]
	v_sub_f16_e32 v9, v7, v9
	v_add_f16_e32 v27, v35, v27
	v_fma_f16 v29, v29, 2.0, -v14
	v_fma_f16 v12, v12, 2.0, -v20
	v_sub_f16_e32 v10, v26, v10
	v_add_f16_e32 v25, v8, v25
	v_fma_f16 v42, v18, s5, v16
	v_fma_f16 v43, v32, s5, v30
	v_fma_f16 v19, v19, 2.0, -v7
	v_fma_f16 v33, v33, 2.0, -v35
	;; [unrolled: 1-line block ×8, first 2 shown]
	v_fma_f16 v32, v32, s4, v42
	v_fma_f16 v18, v18, s5, v43
	;; [unrolled: 1-line block ×4, first 2 shown]
	v_sub_f16_e32 v23, v19, v23
	v_sub_f16_e32 v5, v33, v5
	v_fma_f16 v15, v15, 2.0, -v31
	v_fma_f16 v24, v24, 2.0, -v17
	v_sub_f16_e32 v41, v4, v41
	v_sub_f16_e32 v6, v36, v6
	v_fma_f16 v16, v16, 2.0, -v32
	v_fma_f16 v30, v30, 2.0, -v18
	v_fma_f16 v12, v12, s7, v42
	v_fma_f16 v29, v29, s8, v43
	;; [unrolled: 1-line block ×4, first 2 shown]
	v_fma_f16 v19, v19, 2.0, -v23
	v_fma_f16 v33, v33, 2.0, -v5
	v_fma_f16 v4, v4, 2.0, -v41
	v_fma_f16 v36, v36, 2.0, -v6
	v_fma_f16 v8, v8, s4, v42
	v_fma_f16 v26, v26, s5, v43
	;; [unrolled: 1-line block ×4, first 2 shown]
	v_sub_f16_e32 v4, v19, v4
	v_sub_f16_e32 v36, v33, v36
	v_fma_f16 v30, v30, s6, v42
	v_fma_f16 v16, v16, s9, v43
	;; [unrolled: 1-line block ×4, first 2 shown]
	v_fma_f16 v19, v19, 2.0, -v4
	v_fma_f16 v33, v33, 2.0, -v36
	;; [unrolled: 1-line block ×4, first 2 shown]
	v_fma_f16 v20, v20, s6, v42
	v_fma_f16 v14, v14, s9, v43
	;; [unrolled: 1-line block ×4, first 2 shown]
	v_fma_f16 v7, v7, 2.0, -v8
	v_fma_f16 v35, v35, 2.0, -v26
	;; [unrolled: 1-line block ×4, first 2 shown]
	v_sub_f16_e32 v6, v23, v6
	v_add_f16_e32 v41, v5, v41
	v_fma_f16 v25, v25, s4, v42
	v_fma_f16 v10, v10, s5, v43
	;; [unrolled: 1-line block ×4, first 2 shown]
	v_pack_b32_f16 v19, v19, v33
	v_pack_b32_f16 v11, v11, v34
	v_fma_f16 v23, v23, 2.0, -v6
	v_fma_f16 v5, v5, 2.0, -v41
	;; [unrolled: 1-line block ×4, first 2 shown]
	v_fma_f16 v18, v18, s7, v42
	v_fma_f16 v32, v32, s8, v43
	ds_write2_b32 v22, v19, v11 offset1:80
	v_pack_b32_f16 v7, v7, v35
	v_pack_b32_f16 v11, v15, v24
	v_fma_f16 v9, v9, 2.0, -v25
	v_fma_f16 v27, v27, 2.0, -v10
	;; [unrolled: 1-line block ×4, first 2 shown]
	ds_write2_b32 v22, v7, v11 offset0:160 offset1:240
	v_pack_b32_f16 v5, v23, v5
	v_pack_b32_f16 v7, v13, v28
	ds_write2_b32 v1, v5, v7 offset0:64 offset1:144
	v_pack_b32_f16 v1, v9, v27
	v_pack_b32_f16 v5, v31, v17
	ds_write2_b32 v21, v1, v5 offset0:96 offset1:176
	v_pack_b32_f16 v1, v4, v36
	v_pack_b32_f16 v4, v12, v29
	ds_write2_b32 v37, v1, v4 offset0:128 offset1:208
	v_pack_b32_f16 v1, v8, v26
	v_pack_b32_f16 v4, v30, v16
	ds_write2_b32 v38, v1, v4 offset0:32 offset1:112
	v_pack_b32_f16 v1, v6, v41
	v_pack_b32_f16 v4, v20, v14
	ds_write2_b32 v39, v1, v4 offset0:64 offset1:144
	v_pack_b32_f16 v1, v25, v10
	v_pack_b32_f16 v4, v18, v32
	ds_write2_b32 v40, v1, v4 offset0:96 offset1:176
	s_waitcnt lgkmcnt(0)
	s_barrier
	s_and_saveexec_b64 s[4:5], s[0:1]
	s_cbranch_execz .LBB0_23
; %bb.22:
	v_lshl_add_u32 v6, v0, 2, 0
	v_mov_b32_e32 v1, 0
	ds_read2_b32 v[4:5], v6 offset1:80
	v_mov_b32_e32 v7, s3
	v_add_co_u32_e32 v8, vcc, s2, v2
	v_addc_co_u32_e32 v7, vcc, v7, v3, vcc
	v_lshlrev_b64 v[2:3], 2, v[0:1]
	v_add_co_u32_e32 v2, vcc, v8, v2
	v_addc_co_u32_e32 v3, vcc, v7, v3, vcc
	s_waitcnt lgkmcnt(0)
	global_store_dword v[2:3], v4, off
	v_add_u32_e32 v2, 0x50, v0
	v_mov_b32_e32 v3, v1
	v_lshlrev_b64 v[2:3], 2, v[2:3]
	v_add_co_u32_e32 v2, vcc, v8, v2
	v_addc_co_u32_e32 v3, vcc, v7, v3, vcc
	global_store_dword v[2:3], v5, off
	v_add_u32_e32 v2, 0xa0, v0
	v_mov_b32_e32 v3, v1
	ds_read2_b32 v[4:5], v6 offset0:160 offset1:240
	v_lshlrev_b64 v[2:3], 2, v[2:3]
	v_add_co_u32_e32 v2, vcc, v8, v2
	v_addc_co_u32_e32 v3, vcc, v7, v3, vcc
	s_waitcnt lgkmcnt(0)
	global_store_dword v[2:3], v4, off
	v_add_u32_e32 v2, 0xf0, v0
	v_mov_b32_e32 v3, v1
	v_lshlrev_b64 v[2:3], 2, v[2:3]
	v_add_u32_e32 v4, 0x400, v6
	v_add_co_u32_e32 v2, vcc, v8, v2
	v_addc_co_u32_e32 v3, vcc, v7, v3, vcc
	global_store_dword v[2:3], v5, off
	v_add_u32_e32 v2, 0x140, v0
	v_mov_b32_e32 v3, v1
	ds_read2_b32 v[4:5], v4 offset0:64 offset1:144
	v_lshlrev_b64 v[2:3], 2, v[2:3]
	v_add_co_u32_e32 v2, vcc, v8, v2
	v_addc_co_u32_e32 v3, vcc, v7, v3, vcc
	s_waitcnt lgkmcnt(0)
	global_store_dword v[2:3], v4, off
	v_add_u32_e32 v2, 0x190, v0
	v_mov_b32_e32 v3, v1
	v_lshlrev_b64 v[2:3], 2, v[2:3]
	v_add_u32_e32 v4, 0x600, v6
	v_add_co_u32_e32 v2, vcc, v8, v2
	v_addc_co_u32_e32 v3, vcc, v7, v3, vcc
	global_store_dword v[2:3], v5, off
	v_add_u32_e32 v2, 0x1e0, v0
	v_mov_b32_e32 v3, v1
	ds_read2_b32 v[4:5], v4 offset0:96 offset1:176
	v_lshlrev_b64 v[2:3], 2, v[2:3]
	v_add_co_u32_e32 v2, vcc, v8, v2
	v_addc_co_u32_e32 v3, vcc, v7, v3, vcc
	s_waitcnt lgkmcnt(0)
	global_store_dword v[2:3], v4, off
	v_add_u32_e32 v2, 0x230, v0
	v_mov_b32_e32 v3, v1
	v_lshlrev_b64 v[2:3], 2, v[2:3]
	v_add_u32_e32 v4, 0x800, v6
	v_add_co_u32_e32 v2, vcc, v8, v2
	v_addc_co_u32_e32 v3, vcc, v7, v3, vcc
	global_store_dword v[2:3], v5, off
	v_add_u32_e32 v2, 0x280, v0
	v_mov_b32_e32 v3, v1
	ds_read2_b32 v[4:5], v4 offset0:128 offset1:208
	v_lshlrev_b64 v[2:3], 2, v[2:3]
	v_add_co_u32_e32 v2, vcc, v8, v2
	v_addc_co_u32_e32 v3, vcc, v7, v3, vcc
	s_waitcnt lgkmcnt(0)
	global_store_dword v[2:3], v4, off
	v_add_u32_e32 v2, 0x2d0, v0
	v_mov_b32_e32 v3, v1
	v_lshlrev_b64 v[2:3], 2, v[2:3]
	v_add_u32_e32 v4, 0xc00, v6
	v_add_co_u32_e32 v2, vcc, v8, v2
	v_addc_co_u32_e32 v3, vcc, v7, v3, vcc
	global_store_dword v[2:3], v5, off
	v_add_u32_e32 v2, 0x320, v0
	v_mov_b32_e32 v3, v1
	ds_read2_b32 v[4:5], v4 offset0:32 offset1:112
	v_lshlrev_b64 v[2:3], 2, v[2:3]
	v_add_co_u32_e32 v2, vcc, v8, v2
	v_addc_co_u32_e32 v3, vcc, v7, v3, vcc
	s_waitcnt lgkmcnt(0)
	global_store_dword v[2:3], v4, off
	v_add_u32_e32 v2, 0x370, v0
	v_mov_b32_e32 v3, v1
	v_lshlrev_b64 v[2:3], 2, v[2:3]
	v_add_u32_e32 v4, 0xe00, v6
	v_add_co_u32_e32 v2, vcc, v8, v2
	v_addc_co_u32_e32 v3, vcc, v7, v3, vcc
	global_store_dword v[2:3], v5, off
	v_add_u32_e32 v2, 0x3c0, v0
	v_mov_b32_e32 v3, v1
	ds_read2_b32 v[4:5], v4 offset0:64 offset1:144
	v_lshlrev_b64 v[2:3], 2, v[2:3]
	v_add_co_u32_e32 v2, vcc, v8, v2
	v_addc_co_u32_e32 v3, vcc, v7, v3, vcc
	s_waitcnt lgkmcnt(0)
	global_store_dword v[2:3], v4, off
	v_add_u32_e32 v2, 0x410, v0
	v_mov_b32_e32 v3, v1
	v_lshlrev_b64 v[2:3], 2, v[2:3]
	v_add_u32_e32 v4, 0x1000, v6
	v_add_co_u32_e32 v2, vcc, v8, v2
	v_addc_co_u32_e32 v3, vcc, v7, v3, vcc
	global_store_dword v[2:3], v5, off
	v_add_u32_e32 v2, 0x460, v0
	v_mov_b32_e32 v3, v1
	v_lshlrev_b64 v[2:3], 2, v[2:3]
	ds_read2_b32 v[4:5], v4 offset0:96 offset1:176
	v_add_u32_e32 v0, 0x4b0, v0
	v_add_co_u32_e32 v2, vcc, v8, v2
	v_lshlrev_b64 v[0:1], 2, v[0:1]
	v_addc_co_u32_e32 v3, vcc, v7, v3, vcc
	v_add_co_u32_e32 v0, vcc, v8, v0
	v_addc_co_u32_e32 v1, vcc, v7, v1, vcc
	s_waitcnt lgkmcnt(0)
	global_store_dword v[2:3], v4, off
	global_store_dword v[0:1], v5, off
.LBB0_23:
	s_endpgm
	.section	.rodata,"a",@progbits
	.p2align	6, 0x0
	.amdhsa_kernel fft_rtc_fwd_len1280_factors_16_5_16_wgs_80_tpt_80_halfLds_half_ip_CI_unitstride_sbrr_C2R_dirReg
		.amdhsa_group_segment_fixed_size 0
		.amdhsa_private_segment_fixed_size 0
		.amdhsa_kernarg_size 88
		.amdhsa_user_sgpr_count 6
		.amdhsa_user_sgpr_private_segment_buffer 1
		.amdhsa_user_sgpr_dispatch_ptr 0
		.amdhsa_user_sgpr_queue_ptr 0
		.amdhsa_user_sgpr_kernarg_segment_ptr 1
		.amdhsa_user_sgpr_dispatch_id 0
		.amdhsa_user_sgpr_flat_scratch_init 0
		.amdhsa_user_sgpr_private_segment_size 0
		.amdhsa_uses_dynamic_stack 0
		.amdhsa_system_sgpr_private_segment_wavefront_offset 0
		.amdhsa_system_sgpr_workgroup_id_x 1
		.amdhsa_system_sgpr_workgroup_id_y 0
		.amdhsa_system_sgpr_workgroup_id_z 0
		.amdhsa_system_sgpr_workgroup_info 0
		.amdhsa_system_vgpr_workitem_id 0
		.amdhsa_next_free_vgpr 62
		.amdhsa_next_free_sgpr 22
		.amdhsa_reserve_vcc 1
		.amdhsa_reserve_flat_scratch 0
		.amdhsa_float_round_mode_32 0
		.amdhsa_float_round_mode_16_64 0
		.amdhsa_float_denorm_mode_32 3
		.amdhsa_float_denorm_mode_16_64 3
		.amdhsa_dx10_clamp 1
		.amdhsa_ieee_mode 1
		.amdhsa_fp16_overflow 0
		.amdhsa_exception_fp_ieee_invalid_op 0
		.amdhsa_exception_fp_denorm_src 0
		.amdhsa_exception_fp_ieee_div_zero 0
		.amdhsa_exception_fp_ieee_overflow 0
		.amdhsa_exception_fp_ieee_underflow 0
		.amdhsa_exception_fp_ieee_inexact 0
		.amdhsa_exception_int_div_zero 0
	.end_amdhsa_kernel
	.text
.Lfunc_end0:
	.size	fft_rtc_fwd_len1280_factors_16_5_16_wgs_80_tpt_80_halfLds_half_ip_CI_unitstride_sbrr_C2R_dirReg, .Lfunc_end0-fft_rtc_fwd_len1280_factors_16_5_16_wgs_80_tpt_80_halfLds_half_ip_CI_unitstride_sbrr_C2R_dirReg
                                        ; -- End function
	.section	.AMDGPU.csdata,"",@progbits
; Kernel info:
; codeLenInByte = 9604
; NumSgprs: 26
; NumVgprs: 62
; ScratchSize: 0
; MemoryBound: 0
; FloatMode: 240
; IeeeMode: 1
; LDSByteSize: 0 bytes/workgroup (compile time only)
; SGPRBlocks: 3
; VGPRBlocks: 15
; NumSGPRsForWavesPerEU: 26
; NumVGPRsForWavesPerEU: 62
; Occupancy: 4
; WaveLimiterHint : 1
; COMPUTE_PGM_RSRC2:SCRATCH_EN: 0
; COMPUTE_PGM_RSRC2:USER_SGPR: 6
; COMPUTE_PGM_RSRC2:TRAP_HANDLER: 0
; COMPUTE_PGM_RSRC2:TGID_X_EN: 1
; COMPUTE_PGM_RSRC2:TGID_Y_EN: 0
; COMPUTE_PGM_RSRC2:TGID_Z_EN: 0
; COMPUTE_PGM_RSRC2:TIDIG_COMP_CNT: 0
	.type	__hip_cuid_5e8dfc2f1880518d,@object ; @__hip_cuid_5e8dfc2f1880518d
	.section	.bss,"aw",@nobits
	.globl	__hip_cuid_5e8dfc2f1880518d
__hip_cuid_5e8dfc2f1880518d:
	.byte	0                               ; 0x0
	.size	__hip_cuid_5e8dfc2f1880518d, 1

	.ident	"AMD clang version 19.0.0git (https://github.com/RadeonOpenCompute/llvm-project roc-6.4.0 25133 c7fe45cf4b819c5991fe208aaa96edf142730f1d)"
	.section	".note.GNU-stack","",@progbits
	.addrsig
	.addrsig_sym __hip_cuid_5e8dfc2f1880518d
	.amdgpu_metadata
---
amdhsa.kernels:
  - .args:
      - .actual_access:  read_only
        .address_space:  global
        .offset:         0
        .size:           8
        .value_kind:     global_buffer
      - .offset:         8
        .size:           8
        .value_kind:     by_value
      - .actual_access:  read_only
        .address_space:  global
        .offset:         16
        .size:           8
        .value_kind:     global_buffer
      - .actual_access:  read_only
        .address_space:  global
        .offset:         24
        .size:           8
        .value_kind:     global_buffer
      - .offset:         32
        .size:           8
        .value_kind:     by_value
      - .actual_access:  read_only
        .address_space:  global
        .offset:         40
        .size:           8
        .value_kind:     global_buffer
      - .actual_access:  read_only
        .address_space:  global
        .offset:         48
        .size:           8
        .value_kind:     global_buffer
      - .offset:         56
        .size:           4
        .value_kind:     by_value
      - .actual_access:  read_only
        .address_space:  global
        .offset:         64
        .size:           8
        .value_kind:     global_buffer
      - .actual_access:  read_only
        .address_space:  global
        .offset:         72
        .size:           8
        .value_kind:     global_buffer
      - .address_space:  global
        .offset:         80
        .size:           8
        .value_kind:     global_buffer
    .group_segment_fixed_size: 0
    .kernarg_segment_align: 8
    .kernarg_segment_size: 88
    .language:       OpenCL C
    .language_version:
      - 2
      - 0
    .max_flat_workgroup_size: 80
    .name:           fft_rtc_fwd_len1280_factors_16_5_16_wgs_80_tpt_80_halfLds_half_ip_CI_unitstride_sbrr_C2R_dirReg
    .private_segment_fixed_size: 0
    .sgpr_count:     26
    .sgpr_spill_count: 0
    .symbol:         fft_rtc_fwd_len1280_factors_16_5_16_wgs_80_tpt_80_halfLds_half_ip_CI_unitstride_sbrr_C2R_dirReg.kd
    .uniform_work_group_size: 1
    .uses_dynamic_stack: false
    .vgpr_count:     62
    .vgpr_spill_count: 0
    .wavefront_size: 64
amdhsa.target:   amdgcn-amd-amdhsa--gfx906
amdhsa.version:
  - 1
  - 2
...

	.end_amdgpu_metadata
